;; amdgpu-corpus repo=ROCm/rocFFT kind=compiled arch=gfx906 opt=O3
	.text
	.amdgcn_target "amdgcn-amd-amdhsa--gfx906"
	.amdhsa_code_object_version 6
	.protected	fft_rtc_fwd_len810_factors_3_10_3_3_3_wgs_81_tpt_81_halfLds_half_op_CI_CI_sbrr_dirReg ; -- Begin function fft_rtc_fwd_len810_factors_3_10_3_3_3_wgs_81_tpt_81_halfLds_half_op_CI_CI_sbrr_dirReg
	.globl	fft_rtc_fwd_len810_factors_3_10_3_3_3_wgs_81_tpt_81_halfLds_half_op_CI_CI_sbrr_dirReg
	.p2align	8
	.type	fft_rtc_fwd_len810_factors_3_10_3_3_3_wgs_81_tpt_81_halfLds_half_op_CI_CI_sbrr_dirReg,@function
fft_rtc_fwd_len810_factors_3_10_3_3_3_wgs_81_tpt_81_halfLds_half_op_CI_CI_sbrr_dirReg: ; @fft_rtc_fwd_len810_factors_3_10_3_3_3_wgs_81_tpt_81_halfLds_half_op_CI_CI_sbrr_dirReg
; %bb.0:
	s_load_dwordx4 s[16:19], s[4:5], 0x18
	s_load_dwordx4 s[8:11], s[4:5], 0x0
	;; [unrolled: 1-line block ×3, first 2 shown]
	v_mul_u32_u24_e32 v1, 0x32a, v0
	v_mov_b32_e32 v7, 0
	s_waitcnt lgkmcnt(0)
	s_load_dwordx2 s[2:3], s[16:17], 0x0
	s_load_dwordx2 s[20:21], s[18:19], 0x0
	v_cmp_lt_u64_e64 s[0:1], s[10:11], 2
	v_mov_b32_e32 v5, 0
	v_add_u32_sdwa v9, s6, v1 dst_sel:DWORD dst_unused:UNUSED_PAD src0_sel:DWORD src1_sel:WORD_1
	v_mov_b32_e32 v10, v7
	s_and_b64 vcc, exec, s[0:1]
	v_mov_b32_e32 v6, 0
	s_cbranch_vccnz .LBB0_8
; %bb.1:
	s_load_dwordx2 s[0:1], s[4:5], 0x10
	s_add_u32 s6, s18, 8
	s_addc_u32 s7, s19, 0
	s_add_u32 s22, s16, 8
	s_addc_u32 s23, s17, 0
	v_mov_b32_e32 v5, 0
	s_waitcnt lgkmcnt(0)
	s_add_u32 s24, s0, 8
	v_mov_b32_e32 v6, 0
	v_mov_b32_e32 v1, v5
	s_addc_u32 s25, s1, 0
	s_mov_b64 s[26:27], 1
	v_mov_b32_e32 v2, v6
.LBB0_2:                                ; =>This Inner Loop Header: Depth=1
	s_load_dwordx2 s[28:29], s[24:25], 0x0
                                        ; implicit-def: $vgpr3_vgpr4
	s_waitcnt lgkmcnt(0)
	v_or_b32_e32 v8, s29, v10
	v_cmp_ne_u64_e32 vcc, 0, v[7:8]
	s_and_saveexec_b64 s[0:1], vcc
	s_xor_b64 s[30:31], exec, s[0:1]
	s_cbranch_execz .LBB0_4
; %bb.3:                                ;   in Loop: Header=BB0_2 Depth=1
	v_cvt_f32_u32_e32 v3, s28
	v_cvt_f32_u32_e32 v4, s29
	s_sub_u32 s0, 0, s28
	s_subb_u32 s1, 0, s29
	v_mac_f32_e32 v3, 0x4f800000, v4
	v_rcp_f32_e32 v3, v3
	v_mul_f32_e32 v3, 0x5f7ffffc, v3
	v_mul_f32_e32 v4, 0x2f800000, v3
	v_trunc_f32_e32 v4, v4
	v_mac_f32_e32 v3, 0xcf800000, v4
	v_cvt_u32_f32_e32 v4, v4
	v_cvt_u32_f32_e32 v3, v3
	v_mul_lo_u32 v8, s0, v4
	v_mul_hi_u32 v11, s0, v3
	v_mul_lo_u32 v13, s1, v3
	v_mul_lo_u32 v12, s0, v3
	v_add_u32_e32 v8, v11, v8
	v_add_u32_e32 v8, v8, v13
	v_mul_hi_u32 v11, v3, v12
	v_mul_lo_u32 v13, v3, v8
	v_mul_hi_u32 v15, v3, v8
	v_mul_hi_u32 v14, v4, v12
	v_mul_lo_u32 v12, v4, v12
	v_mul_hi_u32 v16, v4, v8
	v_add_co_u32_e32 v11, vcc, v11, v13
	v_addc_co_u32_e32 v13, vcc, 0, v15, vcc
	v_mul_lo_u32 v8, v4, v8
	v_add_co_u32_e32 v11, vcc, v11, v12
	v_addc_co_u32_e32 v11, vcc, v13, v14, vcc
	v_addc_co_u32_e32 v12, vcc, 0, v16, vcc
	v_add_co_u32_e32 v8, vcc, v11, v8
	v_addc_co_u32_e32 v11, vcc, 0, v12, vcc
	v_add_co_u32_e32 v3, vcc, v3, v8
	v_addc_co_u32_e32 v4, vcc, v4, v11, vcc
	v_mul_lo_u32 v8, s0, v4
	v_mul_hi_u32 v11, s0, v3
	v_mul_lo_u32 v12, s1, v3
	v_mul_lo_u32 v13, s0, v3
	v_add_u32_e32 v8, v11, v8
	v_add_u32_e32 v8, v8, v12
	v_mul_lo_u32 v14, v3, v8
	v_mul_hi_u32 v15, v3, v13
	v_mul_hi_u32 v16, v3, v8
	;; [unrolled: 1-line block ×3, first 2 shown]
	v_mul_lo_u32 v13, v4, v13
	v_mul_hi_u32 v11, v4, v8
	v_add_co_u32_e32 v14, vcc, v15, v14
	v_addc_co_u32_e32 v15, vcc, 0, v16, vcc
	v_mul_lo_u32 v8, v4, v8
	v_add_co_u32_e32 v13, vcc, v14, v13
	v_addc_co_u32_e32 v12, vcc, v15, v12, vcc
	v_addc_co_u32_e32 v11, vcc, 0, v11, vcc
	v_add_co_u32_e32 v8, vcc, v12, v8
	v_addc_co_u32_e32 v11, vcc, 0, v11, vcc
	v_add_co_u32_e32 v8, vcc, v3, v8
	v_addc_co_u32_e32 v11, vcc, v4, v11, vcc
	v_mad_u64_u32 v[3:4], s[0:1], v9, v11, 0
	v_mul_hi_u32 v12, v9, v8
	v_add_co_u32_e32 v13, vcc, v12, v3
	v_addc_co_u32_e32 v14, vcc, 0, v4, vcc
	v_mad_u64_u32 v[3:4], s[0:1], v10, v8, 0
	v_mad_u64_u32 v[11:12], s[0:1], v10, v11, 0
	v_add_co_u32_e32 v3, vcc, v13, v3
	v_addc_co_u32_e32 v3, vcc, v14, v4, vcc
	v_addc_co_u32_e32 v4, vcc, 0, v12, vcc
	v_add_co_u32_e32 v8, vcc, v3, v11
	v_addc_co_u32_e32 v11, vcc, 0, v4, vcc
	v_mul_lo_u32 v12, s29, v8
	v_mul_lo_u32 v13, s28, v11
	v_mad_u64_u32 v[3:4], s[0:1], s28, v8, 0
	v_add3_u32 v4, v4, v13, v12
	v_sub_u32_e32 v12, v10, v4
	v_mov_b32_e32 v13, s29
	v_sub_co_u32_e32 v3, vcc, v9, v3
	v_subb_co_u32_e64 v12, s[0:1], v12, v13, vcc
	v_subrev_co_u32_e64 v13, s[0:1], s28, v3
	v_subbrev_co_u32_e64 v12, s[0:1], 0, v12, s[0:1]
	v_cmp_le_u32_e64 s[0:1], s29, v12
	v_cndmask_b32_e64 v14, 0, -1, s[0:1]
	v_cmp_le_u32_e64 s[0:1], s28, v13
	v_cndmask_b32_e64 v13, 0, -1, s[0:1]
	v_cmp_eq_u32_e64 s[0:1], s29, v12
	v_cndmask_b32_e64 v12, v14, v13, s[0:1]
	v_add_co_u32_e64 v13, s[0:1], 2, v8
	v_addc_co_u32_e64 v14, s[0:1], 0, v11, s[0:1]
	v_add_co_u32_e64 v15, s[0:1], 1, v8
	v_addc_co_u32_e64 v16, s[0:1], 0, v11, s[0:1]
	v_subb_co_u32_e32 v4, vcc, v10, v4, vcc
	v_cmp_ne_u32_e64 s[0:1], 0, v12
	v_cmp_le_u32_e32 vcc, s29, v4
	v_cndmask_b32_e64 v12, v16, v14, s[0:1]
	v_cndmask_b32_e64 v14, 0, -1, vcc
	v_cmp_le_u32_e32 vcc, s28, v3
	v_cndmask_b32_e64 v3, 0, -1, vcc
	v_cmp_eq_u32_e32 vcc, s29, v4
	v_cndmask_b32_e32 v3, v14, v3, vcc
	v_cmp_ne_u32_e32 vcc, 0, v3
	v_cndmask_b32_e64 v3, v15, v13, s[0:1]
	v_cndmask_b32_e32 v4, v11, v12, vcc
	v_cndmask_b32_e32 v3, v8, v3, vcc
.LBB0_4:                                ;   in Loop: Header=BB0_2 Depth=1
	s_andn2_saveexec_b64 s[0:1], s[30:31]
	s_cbranch_execz .LBB0_6
; %bb.5:                                ;   in Loop: Header=BB0_2 Depth=1
	v_cvt_f32_u32_e32 v3, s28
	s_sub_i32 s30, 0, s28
	v_rcp_iflag_f32_e32 v3, v3
	v_mul_f32_e32 v3, 0x4f7ffffe, v3
	v_cvt_u32_f32_e32 v3, v3
	v_mul_lo_u32 v4, s30, v3
	v_mul_hi_u32 v4, v3, v4
	v_add_u32_e32 v3, v3, v4
	v_mul_hi_u32 v3, v9, v3
	v_mul_lo_u32 v4, v3, s28
	v_add_u32_e32 v8, 1, v3
	v_sub_u32_e32 v4, v9, v4
	v_subrev_u32_e32 v11, s28, v4
	v_cmp_le_u32_e32 vcc, s28, v4
	v_cndmask_b32_e32 v4, v4, v11, vcc
	v_cndmask_b32_e32 v3, v3, v8, vcc
	v_add_u32_e32 v8, 1, v3
	v_cmp_le_u32_e32 vcc, s28, v4
	v_cndmask_b32_e32 v3, v3, v8, vcc
	v_mov_b32_e32 v4, v7
.LBB0_6:                                ;   in Loop: Header=BB0_2 Depth=1
	s_or_b64 exec, exec, s[0:1]
	v_mul_lo_u32 v8, v4, s28
	v_mul_lo_u32 v13, v3, s29
	v_mad_u64_u32 v[11:12], s[0:1], v3, s28, 0
	s_load_dwordx2 s[0:1], s[22:23], 0x0
	s_load_dwordx2 s[28:29], s[6:7], 0x0
	v_add3_u32 v8, v12, v13, v8
	v_sub_co_u32_e32 v9, vcc, v9, v11
	v_subb_co_u32_e32 v8, vcc, v10, v8, vcc
	s_waitcnt lgkmcnt(0)
	v_mul_lo_u32 v10, s0, v8
	v_mul_lo_u32 v11, s1, v9
	v_mad_u64_u32 v[5:6], s[0:1], s0, v9, v[5:6]
	v_mul_lo_u32 v8, s28, v8
	v_mul_lo_u32 v12, s29, v9
	v_mad_u64_u32 v[1:2], s[0:1], s28, v9, v[1:2]
	s_add_u32 s26, s26, 1
	s_addc_u32 s27, s27, 0
	s_add_u32 s6, s6, 8
	v_add3_u32 v2, v12, v2, v8
	s_addc_u32 s7, s7, 0
	v_mov_b32_e32 v8, s10
	s_add_u32 s22, s22, 8
	v_mov_b32_e32 v9, s11
	s_addc_u32 s23, s23, 0
	v_cmp_ge_u64_e32 vcc, s[26:27], v[8:9]
	s_add_u32 s24, s24, 8
	v_add3_u32 v6, v11, v6, v10
	s_addc_u32 s25, s25, 0
	s_cbranch_vccnz .LBB0_9
; %bb.7:                                ;   in Loop: Header=BB0_2 Depth=1
	v_mov_b32_e32 v10, v4
	v_mov_b32_e32 v9, v3
	s_branch .LBB0_2
.LBB0_8:
	v_mov_b32_e32 v1, v5
	v_mov_b32_e32 v3, v9
	;; [unrolled: 1-line block ×4, first 2 shown]
.LBB0_9:
	s_load_dwordx2 s[0:1], s[4:5], 0x28
	s_lshl_b64 s[10:11], s[10:11], 3
	s_add_u32 s4, s18, s10
	s_addc_u32 s5, s19, s11
                                        ; implicit-def: $vgpr9
                                        ; implicit-def: $vgpr10
                                        ; implicit-def: $vgpr7
	s_waitcnt lgkmcnt(0)
	v_cmp_gt_u64_e32 vcc, s[0:1], v[3:4]
	v_cmp_le_u64_e64 s[0:1], s[0:1], v[3:4]
	s_and_saveexec_b64 s[6:7], s[0:1]
	s_xor_b64 s[0:1], exec, s[6:7]
; %bb.10:
	s_mov_b32 s6, 0x3291620
	v_mul_hi_u32 v5, v0, s6
	v_mul_u32_u24_e32 v5, 0x51, v5
	v_sub_u32_e32 v9, v0, v5
	v_add_u32_e32 v10, 0x51, v9
	v_add_u32_e32 v7, 0xa2, v9
                                        ; implicit-def: $vgpr0
                                        ; implicit-def: $vgpr5_vgpr6
; %bb.11:
	s_or_saveexec_b64 s[6:7], s[0:1]
	s_load_dwordx2 s[4:5], s[4:5], 0x0
                                        ; implicit-def: $vgpr26
                                        ; implicit-def: $vgpr18
                                        ; implicit-def: $vgpr25
                                        ; implicit-def: $vgpr17
                                        ; implicit-def: $vgpr24
                                        ; implicit-def: $vgpr21
                                        ; implicit-def: $vgpr23
                                        ; implicit-def: $vgpr13
                                        ; implicit-def: $vgpr29
                                        ; implicit-def: $vgpr8
                                        ; implicit-def: $vgpr22
                                        ; implicit-def: $vgpr16
                                        ; implicit-def: $vgpr31
                                        ; implicit-def: $vgpr11
                                        ; implicit-def: $vgpr32
                                        ; implicit-def: $vgpr12
                                        ; implicit-def: $vgpr30
                                        ; implicit-def: $vgpr19
                                        ; implicit-def: $vgpr34
                                        ; implicit-def: $vgpr14
                                        ; implicit-def: $vgpr35
                                        ; implicit-def: $vgpr15
                                        ; implicit-def: $vgpr33
                                        ; implicit-def: $vgpr20
	s_xor_b64 exec, exec, s[6:7]
	s_cbranch_execz .LBB0_15
; %bb.12:
	s_add_u32 s0, s16, s10
	s_mov_b32 s10, 0x3291620
	v_mul_hi_u32 v7, v0, s10
	s_addc_u32 s1, s17, s11
	s_load_dwordx2 s[0:1], s[0:1], 0x0
	v_lshlrev_b64 v[5:6], 2, v[5:6]
	v_mul_u32_u24_e32 v7, 0x51, v7
	v_sub_u32_e32 v9, v0, v7
	v_mad_u64_u32 v[7:8], s[10:11], s2, v9, 0
	s_waitcnt lgkmcnt(0)
	v_mul_lo_u32 v14, s1, v3
	v_mul_lo_u32 v15, s0, v4
	v_mad_u64_u32 v[10:11], s[0:1], s0, v3, 0
	v_mov_b32_e32 v0, v8
	v_mad_u64_u32 v[12:13], s[0:1], s3, v9, v[0:1]
	v_add3_u32 v11, v11, v15, v14
	v_lshlrev_b64 v[10:11], 2, v[10:11]
	v_mov_b32_e32 v8, v12
	v_mov_b32_e32 v0, s13
	v_add_co_u32_e64 v12, s[0:1], s12, v10
	v_add_u32_e32 v14, 0x10e, v9
	v_addc_co_u32_e64 v13, s[0:1], v0, v11, s[0:1]
	v_mad_u64_u32 v[10:11], s[0:1], s2, v14, 0
	v_add_co_u32_e64 v0, s[0:1], v12, v5
	v_addc_co_u32_e64 v5, s[0:1], v13, v6, s[0:1]
	v_lshlrev_b64 v[6:7], 2, v[7:8]
	v_mov_b32_e32 v8, v11
	v_mad_u64_u32 v[11:12], s[0:1], s3, v14, v[8:9]
	v_add_u32_e32 v14, 0x21c, v9
	v_mad_u64_u32 v[12:13], s[0:1], s2, v14, 0
	v_add_co_u32_e64 v17, s[0:1], v0, v6
	v_mov_b32_e32 v8, v13
	v_addc_co_u32_e64 v18, s[0:1], v5, v7, s[0:1]
	v_lshlrev_b64 v[6:7], 2, v[10:11]
	v_mad_u64_u32 v[13:14], s[0:1], s3, v14, v[8:9]
	v_add_u32_e32 v10, 0x51, v9
	v_mad_u64_u32 v[14:15], s[0:1], s2, v10, 0
	v_add_co_u32_e64 v21, s[0:1], v0, v6
	v_mov_b32_e32 v8, v15
	v_addc_co_u32_e64 v22, s[0:1], v5, v7, s[0:1]
	v_lshlrev_b64 v[6:7], 2, v[12:13]
	v_mad_u64_u32 v[11:12], s[0:1], s3, v10, v[8:9]
	v_add_u32_e32 v16, 0x15f, v9
	v_mad_u64_u32 v[12:13], s[0:1], s2, v16, 0
	v_add_co_u32_e64 v23, s[0:1], v0, v6
	v_mov_b32_e32 v15, v11
	v_mov_b32_e32 v8, v13
	v_addc_co_u32_e64 v24, s[0:1], v5, v7, s[0:1]
	v_lshlrev_b64 v[6:7], 2, v[14:15]
	v_mad_u64_u32 v[13:14], s[0:1], s3, v16, v[8:9]
	v_add_u32_e32 v8, 0x26d, v9
	v_mad_u64_u32 v[14:15], s[0:1], s2, v8, 0
	v_add_co_u32_e64 v25, s[0:1], v0, v6
	v_mov_b32_e32 v6, v15
	v_addc_co_u32_e64 v26, s[0:1], v5, v7, s[0:1]
	v_mad_u64_u32 v[6:7], s[0:1], s3, v8, v[6:7]
	v_add_u32_e32 v7, 0xa2, v9
	v_mad_u64_u32 v[19:20], s[0:1], s2, v7, 0
	v_lshlrev_b64 v[11:12], 2, v[12:13]
	v_mov_b32_e32 v15, v6
	v_add_co_u32_e64 v27, s[0:1], v0, v11
	v_mov_b32_e32 v6, v20
	v_addc_co_u32_e64 v28, s[0:1], v5, v12, s[0:1]
	v_lshlrev_b64 v[11:12], 2, v[14:15]
	v_mad_u64_u32 v[13:14], s[0:1], s3, v7, v[6:7]
	v_add_u32_e32 v8, 0x1b0, v9
	v_mad_u64_u32 v[14:15], s[0:1], s2, v8, 0
	v_add_co_u32_e64 v29, s[0:1], v0, v11
	v_mov_b32_e32 v20, v13
	v_addc_co_u32_e64 v30, s[0:1], v5, v12, s[0:1]
	v_lshlrev_b64 v[11:12], 2, v[19:20]
	v_mov_b32_e32 v6, v15
	v_mad_u64_u32 v[15:16], s[0:1], s3, v8, v[6:7]
	v_add_co_u32_e64 v31, s[0:1], v0, v11
	v_add_u32_e32 v8, 0x2be, v9
	v_addc_co_u32_e64 v32, s[0:1], v5, v12, s[0:1]
	v_mad_u64_u32 v[33:34], s[0:1], s2, v8, 0
	v_lshlrev_b64 v[11:12], 2, v[14:15]
	v_add_co_u32_e64 v35, s[0:1], v0, v11
	v_mov_b32_e32 v6, v34
	v_addc_co_u32_e64 v36, s[0:1], v5, v12, s[0:1]
	v_mad_u64_u32 v[13:14], s[0:1], s3, v8, v[6:7]
	global_load_dword v20, v[17:18], off
	global_load_dword v15, v[21:22], off
	;; [unrolled: 1-line block ×8, first 2 shown]
                                        ; implicit-def: $vgpr21
                                        ; implicit-def: $vgpr24
                                        ; implicit-def: $vgpr25
                                        ; implicit-def: $vgpr26
	v_mov_b32_e32 v34, v13
	v_lshlrev_b64 v[17:18], 2, v[33:34]
	v_add_co_u32_e64 v17, s[0:1], v0, v17
	v_addc_co_u32_e64 v18, s[0:1], v5, v18, s[0:1]
	global_load_dword v13, v[17:18], off
	v_cmp_gt_u32_e64 s[0:1], 27, v9
                                        ; implicit-def: $vgpr17
                                        ; implicit-def: $vgpr18
	s_and_saveexec_b64 s[10:11], s[0:1]
	s_cbranch_execz .LBB0_14
; %bb.13:
	v_add_u32_e32 v23, 0xf3, v9
	v_mad_u64_u32 v[17:18], s[0:1], s2, v23, 0
	v_add_u32_e32 v25, 0x201, v9
	v_mad_u64_u32 v[21:22], s[0:1], s2, v25, 0
	v_mov_b32_e32 v6, v18
	v_mad_u64_u32 v[23:24], s[0:1], s3, v23, v[6:7]
	v_mov_b32_e32 v6, v22
	v_add_u32_e32 v27, 0x30f, v9
	v_mov_b32_e32 v18, v23
	v_mad_u64_u32 v[22:23], s[0:1], s3, v25, v[6:7]
	v_mad_u64_u32 v[23:24], s[0:1], s2, v27, 0
	v_lshlrev_b64 v[17:18], 2, v[17:18]
	v_add_co_u32_e64 v25, s[0:1], v0, v17
	v_mov_b32_e32 v6, v24
	v_addc_co_u32_e64 v26, s[0:1], v5, v18, s[0:1]
	v_lshlrev_b64 v[17:18], 2, v[21:22]
	v_mad_u64_u32 v[21:22], s[0:1], s3, v27, v[6:7]
	v_add_co_u32_e64 v27, s[0:1], v0, v17
	v_mov_b32_e32 v24, v21
	v_addc_co_u32_e64 v28, s[0:1], v5, v18, s[0:1]
	v_lshlrev_b64 v[17:18], 2, v[23:24]
	v_add_co_u32_e64 v22, s[0:1], v0, v17
	v_addc_co_u32_e64 v23, s[0:1], v5, v18, s[0:1]
	global_load_dword v21, v[25:26], off
	global_load_dword v17, v[27:28], off
	;; [unrolled: 1-line block ×3, first 2 shown]
	s_waitcnt vmcnt(2)
	v_lshrrev_b32_e32 v24, 16, v21
	s_waitcnt vmcnt(1)
	v_lshrrev_b32_e32 v25, 16, v17
	;; [unrolled: 2-line block ×3, first 2 shown]
.LBB0_14:
	s_or_b64 exec, exec, s[10:11]
	s_waitcnt vmcnt(8)
	v_lshrrev_b32_e32 v33, 16, v20
	s_waitcnt vmcnt(7)
	v_lshrrev_b32_e32 v35, 16, v15
	;; [unrolled: 2-line block ×9, first 2 shown]
.LBB0_15:
	s_or_b64 exec, exec, s[6:7]
	v_add_f16_e32 v5, v14, v15
	v_fma_f16 v5, v5, -0.5, v20
	v_sub_f16_e32 v6, v35, v34
	s_movk_i32 s6, 0x3aee
	s_mov_b32 s7, 0xbaee
	v_add_f16_e32 v0, v15, v20
	v_fma_f16 v20, v6, s6, v5
	v_fma_f16 v27, v6, s7, v5
	v_add_f16_e32 v5, v12, v19
	v_add_f16_e32 v28, v11, v5
	;; [unrolled: 1-line block ×3, first 2 shown]
	v_fma_f16 v5, v5, -0.5, v19
	v_sub_f16_e32 v6, v32, v31
	v_fma_f16 v19, v6, s6, v5
	v_fma_f16 v37, v6, s7, v5
	v_add_f16_e32 v5, v8, v16
	v_add_f16_e32 v38, v13, v5
	;; [unrolled: 1-line block ×3, first 2 shown]
	v_fma_f16 v5, v5, -0.5, v16
	v_sub_f16_e32 v6, v29, v23
	v_fma_f16 v16, v6, s6, v5
	v_fma_f16 v39, v6, s7, v5
	v_add_f16_e32 v5, v18, v17
	v_fma_f16 v5, v5, -0.5, v21
	v_sub_f16_e32 v36, v25, v26
	v_add_f16_e32 v0, v14, v0
	v_fma_f16 v6, v36, s6, v5
	v_fma_f16 v5, v36, s7, v5
	v_mad_u32_u24 v36, v9, 6, 0
	ds_write_b16 v36, v0
	ds_write_b16 v36, v20 offset:2
	ds_write_b16 v36, v27 offset:4
	v_mad_i32_i24 v27, v10, 6, 0
	ds_write_b16 v27, v28
	ds_write_b16 v27, v19 offset:2
	ds_write_b16 v27, v37 offset:4
	v_mad_i32_i24 v28, v7, 6, 0
	v_cmp_gt_u32_e64 s[0:1], 27, v9
	ds_write_b16 v28, v38
	ds_write_b16 v28, v16 offset:2
	ds_write_b16 v28, v39 offset:4
	s_and_saveexec_b64 s[2:3], s[0:1]
	s_cbranch_execz .LBB0_17
; %bb.16:
	v_add_f16_e32 v0, v17, v21
	v_add_f16_e32 v0, v18, v0
	ds_write_b16 v36, v0 offset:1458
	ds_write_b16 v36, v6 offset:1460
	;; [unrolled: 1-line block ×3, first 2 shown]
.LBB0_17:
	s_or_b64 exec, exec, s[2:3]
	v_add_f16_e32 v0, v35, v33
	v_add_f16_e32 v37, v34, v0
	v_add_f16_e32 v0, v34, v35
	v_fma_f16 v0, v0, -0.5, v33
	v_sub_f16_e32 v14, v15, v14
	v_fma_f16 v33, v14, s7, v0
	v_fma_f16 v34, v14, s6, v0
	v_add_f16_e32 v0, v32, v30
	v_add_f16_e32 v35, v31, v0
	v_add_f16_e32 v0, v31, v32
	v_fma_f16 v0, v0, -0.5, v30
	v_sub_f16_e32 v11, v12, v11
	v_fma_f16 v30, v11, s7, v0
	v_fma_f16 v31, v11, s6, v0
	;; [unrolled: 7-line block ×3, first 2 shown]
	v_add_f16_e32 v0, v26, v25
	v_fma_f16 v0, v0, -0.5, v24
	v_sub_f16_e32 v8, v17, v18
	v_lshlrev_b32_e32 v11, 2, v10
	v_lshlrev_b32_e32 v15, 2, v7
	v_fma_f16 v14, v8, s7, v0
	v_fma_f16 v13, v8, s6, v0
	v_lshlrev_b32_e32 v0, 2, v9
	v_sub_u32_e32 v8, 0, v11
	v_sub_u32_e32 v12, v27, v11
	;; [unrolled: 1-line block ×4, first 2 shown]
	s_waitcnt lgkmcnt(0)
	s_barrier
	v_sub_u32_e32 v0, v36, v0
	ds_read_u16 v23, v12
	ds_read_u16 v21, v15
	;; [unrolled: 1-line block ×3, first 2 shown]
	ds_read_u16 v22, v0 offset:486
	ds_read_u16 v20, v0 offset:648
	;; [unrolled: 1-line block ×7, first 2 shown]
	s_waitcnt lgkmcnt(0)
	s_barrier
	ds_write_b16 v36, v37
	ds_write_b16 v36, v33 offset:2
	ds_write_b16 v36, v34 offset:4
	ds_write_b16 v27, v35
	ds_write_b16 v27, v30 offset:2
	ds_write_b16 v27, v31 offset:4
	;; [unrolled: 3-line block ×3, first 2 shown]
	s_and_saveexec_b64 s[2:3], s[0:1]
	s_cbranch_execz .LBB0_19
; %bb.18:
	v_add_f16_e32 v24, v25, v24
	v_add_f16_e32 v24, v26, v24
	ds_write_b16 v36, v24 offset:1458
	ds_write_b16 v36, v14 offset:1460
	;; [unrolled: 1-line block ×3, first 2 shown]
.LBB0_19:
	s_or_b64 exec, exec, s[2:3]
	s_movk_i32 s2, 0xab
	v_mul_lo_u16_sdwa v24, v9, s2 dst_sel:DWORD dst_unused:UNUSED_PAD src0_sel:BYTE_0 src1_sel:DWORD
	v_lshrrev_b16_e32 v39, 9, v24
	v_mul_lo_u16_e32 v24, 3, v39
	v_sub_u16_e32 v46, v9, v24
	v_mov_b32_e32 v24, 9
	v_mul_u32_u24_sdwa v24, v46, v24 dst_sel:DWORD dst_unused:UNUSED_PAD src0_sel:BYTE_0 src1_sel:DWORD
	v_lshlrev_b32_e32 v24, 2, v24
	s_waitcnt lgkmcnt(0)
	s_barrier
	global_load_dwordx4 v[29:32], v24, s[8:9]
	global_load_dwordx4 v[34:37], v24, s[8:9] offset:16
	global_load_dword v38, v24, s[8:9] offset:32
	v_add_u32_e32 v8, v27, v8
	v_add_u32_e32 v11, v28, v11
	ds_read_u16 v26, v0 offset:648
	ds_read_u16 v27, v0 offset:810
	;; [unrolled: 1-line block ×6, first 2 shown]
	ds_read_u16 v25, v8
	ds_read_u16 v33, v11
	ds_read_u16 v43, v0 offset:486
	ds_read_u16 v24, v0
	s_movk_i32 s12, 0x3b9c
	s_mov_b32 s7, 0xbb9c
	s_movk_i32 s11, 0x38b4
	s_mov_b32 s10, 0xb8b4
	s_movk_i32 s6, 0x34f2
	s_movk_i32 s13, 0x3a79
	v_mul_u32_u24_e32 v39, 60, v39
	s_waitcnt vmcnt(0) lgkmcnt(0)
	s_barrier
	v_mul_f16_sdwa v44, v25, v29 dst_sel:DWORD dst_unused:UNUSED_PAD src0_sel:DWORD src1_sel:WORD_1
	v_mul_f16_sdwa v45, v23, v29 dst_sel:DWORD dst_unused:UNUSED_PAD src0_sel:DWORD src1_sel:WORD_1
	;; [unrolled: 1-line block ×14, first 2 shown]
	v_fma_f16 v44, v23, v29, -v44
	v_fma_f16 v23, v25, v29, v45
	v_fma_f16 v29, v21, v30, -v47
	v_fma_f16 v25, v33, v30, v48
	v_fma_f16 v30, v20, v32, -v51
	v_fma_f16 v20, v19, v34, -v53
	v_fma_f16 v19, v27, v34, v54
	v_fma_f16 v33, v18, v35, -v55
	;; [unrolled: 3-line block ×3, first 2 shown]
	v_mul_f16_sdwa v49, v43, v31 dst_sel:DWORD dst_unused:UNUSED_PAD src0_sel:DWORD src1_sel:WORD_1
	v_mul_f16_sdwa v50, v22, v31 dst_sel:DWORD dst_unused:UNUSED_PAD src0_sel:DWORD src1_sel:WORD_1
	;; [unrolled: 1-line block ×4, first 2 shown]
	v_fma_f16 v26, v26, v32, v52
	v_fma_f16 v18, v28, v35, v56
	;; [unrolled: 1-line block ×3, first 2 shown]
	v_add_f16_e32 v32, v30, v33
	v_add_f16_e32 v40, v29, v36
	v_fma_f16 v21, v22, v31, -v49
	v_fma_f16 v22, v43, v31, v50
	v_fma_f16 v15, v15, v38, -v61
	v_fma_f16 v16, v42, v38, v62
	v_add_f16_e32 v31, v12, v29
	v_sub_f16_e32 v34, v25, v28
	v_sub_f16_e32 v35, v26, v18
	;; [unrolled: 1-line block ×6, first 2 shown]
	v_fma_f16 v32, v32, -0.5, v12
	v_fma_f16 v12, v40, -0.5, v12
	v_add_f16_e32 v37, v37, v38
	v_add_f16_e32 v38, v41, v42
	v_fma_f16 v40, v34, s12, v32
	v_fma_f16 v32, v34, s7, v32
	v_fma_f16 v41, v35, s7, v12
	v_fma_f16 v12, v35, s12, v12
	v_fma_f16 v40, v35, s11, v40
	v_fma_f16 v32, v35, s10, v32
	v_fma_f16 v12, v34, s10, v12
	v_fma_f16 v35, v34, s11, v41
	v_fma_f16 v34, v37, s6, v40
	v_fma_f16 v32, v37, s6, v32
	v_fma_f16 v37, v38, s6, v12
	v_add_f16_e32 v12, v44, v21
	v_add_f16_e32 v12, v12, v20
	;; [unrolled: 1-line block ×5, first 2 shown]
	v_fma_f16 v12, v12, -0.5, v44
	v_sub_f16_e32 v40, v22, v16
	v_fma_f16 v35, v38, s6, v35
	v_fma_f16 v38, v40, s12, v12
	v_sub_f16_e32 v42, v19, v17
	v_sub_f16_e32 v41, v21, v20
	;; [unrolled: 1-line block ×3, first 2 shown]
	v_fma_f16 v12, v40, s7, v12
	v_fma_f16 v38, v42, s11, v38
	v_add_f16_e32 v41, v41, v43
	v_fma_f16 v12, v42, s10, v12
	v_fma_f16 v38, v41, s6, v38
	;; [unrolled: 1-line block ×3, first 2 shown]
	v_add_f16_e32 v41, v21, v15
	v_fma_f16 v43, v41, -0.5, v44
	v_fma_f16 v41, v42, s7, v43
	v_fma_f16 v42, v42, s12, v43
	;; [unrolled: 1-line block ×4, first 2 shown]
	v_add_f16_e32 v42, v19, v17
	v_sub_f16_e32 v45, v27, v15
	v_fma_f16 v42, v42, -0.5, v23
	v_sub_f16_e32 v15, v21, v15
	v_sub_f16_e32 v44, v20, v21
	v_fma_f16 v21, v15, s7, v42
	v_sub_f16_e32 v20, v20, v27
	v_sub_f16_e32 v27, v22, v19
	;; [unrolled: 1-line block ×3, first 2 shown]
	v_fma_f16 v21, v20, s10, v21
	v_add_f16_e32 v27, v27, v43
	v_fma_f16 v43, v27, s6, v21
	v_fma_f16 v21, v15, s12, v42
	;; [unrolled: 1-line block ×4, first 2 shown]
	v_add_f16_e32 v21, v22, v16
	v_add_f16_e32 v44, v44, v45
	v_fma_f16 v21, v21, -0.5, v23
	v_fma_f16 v41, v44, s6, v41
	v_fma_f16 v40, v44, s6, v40
	;; [unrolled: 1-line block ×3, first 2 shown]
	v_sub_f16_e32 v44, v19, v22
	v_sub_f16_e32 v45, v17, v16
	v_fma_f16 v20, v20, s7, v21
	v_fma_f16 v27, v15, s10, v27
	v_add_f16_e32 v45, v44, v45
	v_fma_f16 v15, v15, s11, v20
	v_fma_f16 v44, v45, s6, v27
	;; [unrolled: 1-line block ×3, first 2 shown]
	v_mul_f16_e32 v15, 0x38b4, v43
	v_add_f16_e32 v31, v31, v30
	v_fma_f16 v15, v38, s13, v15
	v_add_f16_e32 v31, v31, v33
	v_add_f16_e32 v21, v34, v15
	v_mul_f16_e32 v27, 0x3b9c, v44
	v_sub_f16_e32 v34, v34, v15
	v_mul_f16_e32 v15, 0x34f2, v40
	v_add_f16_e32 v31, v31, v36
	v_fma_f16 v27, v41, s6, v27
	v_fma_f16 v15, v45, s12, -v15
	v_add_f16_e32 v20, v31, v47
	v_sub_f16_e32 v31, v31, v47
	v_add_f16_e32 v47, v35, v27
	v_sub_f16_e32 v27, v35, v27
	;; [unrolled: 2-line block ×3, first 2 shown]
	v_mul_f16_e32 v15, 0x3a79, v12
	v_fma_f16 v15, v42, s11, -v15
	v_add_f16_e32 v48, v32, v15
	v_sub_f16_e32 v15, v32, v15
	v_mov_b32_e32 v32, 1
	v_lshlrev_b32_sdwa v32, v32, v46 dst_sel:DWORD dst_unused:UNUSED_PAD src0_sel:DWORD src1_sel:BYTE_0
	v_add3_u32 v46, 0, v39, v32
	ds_write_b16 v46, v20
	ds_write_b16 v46, v21 offset:6
	ds_write_b16 v46, v47 offset:12
	;; [unrolled: 1-line block ×9, first 2 shown]
	s_waitcnt lgkmcnt(0)
	s_barrier
	ds_read_u16 v27, v0
	ds_read_u16 v37, v0 offset:540
	ds_read_u16 v34, v0 offset:702
	ds_read_u16 v20, v11
	ds_read_u16 v21, v8
	ds_read_u16 v31, v0 offset:1404
	ds_read_u16 v35, v0 offset:1242
	ds_read_u16 v39, v0 offset:1080
	ds_read_u16 v32, v0 offset:864
	s_and_saveexec_b64 s[2:3], s[0:1]
	s_cbranch_execz .LBB0_21
; %bb.20:
	ds_read_u16 v15, v0 offset:486
	ds_read_u16 v6, v0 offset:1026
	ds_read_u16 v5, v0 offset:1566
.LBB0_21:
	s_or_b64 exec, exec, s[2:3]
	v_add_f16_e32 v48, v26, v18
	v_fma_f16 v48, v48, -0.5, v24
	v_sub_f16_e32 v29, v29, v36
	v_fma_f16 v36, v29, s7, v48
	v_sub_f16_e32 v30, v30, v33
	v_fma_f16 v33, v30, s10, v36
	v_sub_f16_e32 v36, v25, v26
	v_sub_f16_e32 v49, v28, v18
	v_fma_f16 v48, v29, s12, v48
	v_add_f16_e32 v36, v36, v49
	v_fma_f16 v48, v30, s11, v48
	v_add_f16_e32 v47, v24, v25
	v_fma_f16 v33, v36, s6, v33
	v_fma_f16 v36, v36, s6, v48
	v_add_f16_e32 v48, v25, v28
	v_add_f16_e32 v47, v47, v26
	v_fma_f16 v24, v48, -0.5, v24
	v_add_f16_e32 v22, v23, v22
	v_add_f16_e32 v47, v47, v18
	v_fma_f16 v48, v30, s12, v24
	v_sub_f16_e32 v25, v26, v25
	v_sub_f16_e32 v18, v18, v28
	v_fma_f16 v24, v30, s7, v24
	v_add_f16_e32 v19, v22, v19
	v_fma_f16 v48, v29, s10, v48
	v_add_f16_e32 v18, v25, v18
	;; [unrolled: 2-line block ×3, first 2 shown]
	v_mul_f16_e32 v19, 0xb8b4, v38
	v_mul_f16_e32 v23, 0xbb9c, v41
	;; [unrolled: 1-line block ×3, first 2 shown]
	v_add_f16_e32 v47, v47, v28
	v_fma_f16 v25, v18, s6, v48
	v_fma_f16 v18, v18, s6, v24
	v_add_f16_e32 v16, v17, v16
	v_fma_f16 v19, v43, s13, v19
	v_fma_f16 v23, v44, s6, v23
	v_fma_f16 v26, v40, s7, -v26
	v_mul_f16_e32 v29, 0x3a79, v42
	v_add_f16_e32 v17, v47, v16
	v_add_f16_e32 v22, v33, v19
	;; [unrolled: 1-line block ×4, first 2 shown]
	v_fma_f16 v12, v12, s10, -v29
	v_sub_f16_e32 v30, v47, v16
	v_sub_f16_e32 v19, v33, v19
	;; [unrolled: 1-line block ×4, first 2 shown]
	v_add_f16_e32 v29, v36, v12
	v_sub_f16_e32 v16, v36, v12
	s_waitcnt lgkmcnt(0)
	s_barrier
	ds_write_b16 v46, v17
	ds_write_b16 v46, v22 offset:6
	ds_write_b16 v46, v24 offset:12
	;; [unrolled: 1-line block ×9, first 2 shown]
	s_waitcnt lgkmcnt(0)
	s_barrier
	ds_read_u16 v19, v0
	ds_read_u16 v23, v0 offset:540
	ds_read_u16 v28, v0 offset:702
	;; [unrolled: 1-line block ×3, first 2 shown]
	ds_read_u16 v17, v11
	ds_read_u16 v18, v8
	ds_read_u16 v33, v0 offset:1404
	ds_read_u16 v25, v0 offset:1080
	;; [unrolled: 1-line block ×3, first 2 shown]
	s_and_saveexec_b64 s[2:3], s[0:1]
	s_cbranch_execz .LBB0_23
; %bb.22:
	ds_read_u16 v16, v0 offset:486
	ds_read_u16 v14, v0 offset:1026
	;; [unrolled: 1-line block ×3, first 2 shown]
.LBB0_23:
	s_or_b64 exec, exec, s[2:3]
	s_movk_i32 s2, 0x89
	v_mul_lo_u16_sdwa v22, v9, s2 dst_sel:DWORD dst_unused:UNUSED_PAD src0_sel:BYTE_0 src1_sel:DWORD
	v_lshrrev_b16_e32 v43, 12, v22
	v_mul_lo_u16_e32 v22, 30, v43
	v_sub_u16_e32 v22, v9, v22
	v_mov_b32_e32 v42, 1
	v_mov_b32_e32 v45, 3
	v_lshlrev_b32_sdwa v44, v42, v22 dst_sel:DWORD dst_unused:UNUSED_PAD src0_sel:DWORD src1_sel:BYTE_0
	v_lshlrev_b32_sdwa v22, v45, v22 dst_sel:DWORD dst_unused:UNUSED_PAD src0_sel:DWORD src1_sel:BYTE_0
	global_load_dwordx2 v[40:41], v22, s[8:9] offset:108
	v_add_u32_e32 v12, 0xf3, v9
	s_mov_b32 s3, 0xbaee
	v_mul_u32_u24_e32 v43, 0xb4, v43
	v_add3_u32 v44, 0, v43, v44
	s_waitcnt vmcnt(0)
	v_mul_f16_sdwa v24, v37, v40 dst_sel:DWORD dst_unused:UNUSED_PAD src0_sel:DWORD src1_sel:WORD_1
	v_mul_f16_sdwa v26, v39, v41 dst_sel:DWORD dst_unused:UNUSED_PAD src0_sel:DWORD src1_sel:WORD_1
	s_waitcnt lgkmcnt(7)
	v_mul_f16_sdwa v22, v23, v40 dst_sel:DWORD dst_unused:UNUSED_PAD src0_sel:DWORD src1_sel:WORD_1
	v_fma_f16 v23, v23, v40, v24
	s_waitcnt lgkmcnt(1)
	v_mul_f16_sdwa v24, v25, v41 dst_sel:DWORD dst_unused:UNUSED_PAD src0_sel:DWORD src1_sel:WORD_1
	v_fma_f16 v25, v25, v41, v26
	v_mul_lo_u16_sdwa v26, v10, s2 dst_sel:DWORD dst_unused:UNUSED_PAD src0_sel:BYTE_0 src1_sel:DWORD
	v_fma_f16 v24, v39, v41, -v24
	v_lshrrev_b16_e32 v39, 12, v26
	v_mul_lo_u16_e32 v26, 30, v39
	v_sub_u16_e32 v26, v10, v26
	v_lshlrev_b32_sdwa v41, v42, v26 dst_sel:DWORD dst_unused:UNUSED_PAD src0_sel:DWORD src1_sel:BYTE_0
	v_lshlrev_b32_sdwa v26, v45, v26 dst_sel:DWORD dst_unused:UNUSED_PAD src0_sel:DWORD src1_sel:BYTE_0
	v_fma_f16 v22, v37, v40, -v22
	global_load_dwordx2 v[37:38], v26, s[8:9] offset:108
	s_waitcnt vmcnt(0)
	v_mul_f16_sdwa v26, v28, v37 dst_sel:DWORD dst_unused:UNUSED_PAD src0_sel:DWORD src1_sel:WORD_1
	v_fma_f16 v26, v34, v37, -v26
	v_mul_f16_sdwa v29, v34, v37 dst_sel:DWORD dst_unused:UNUSED_PAD src0_sel:DWORD src1_sel:WORD_1
	v_mul_f16_sdwa v34, v35, v38 dst_sel:DWORD dst_unused:UNUSED_PAD src0_sel:DWORD src1_sel:WORD_1
	v_fma_f16 v28, v28, v37, v29
	v_mul_f16_sdwa v29, v30, v38 dst_sel:DWORD dst_unused:UNUSED_PAD src0_sel:DWORD src1_sel:WORD_1
	v_fma_f16 v30, v30, v38, v34
	v_mul_lo_u16_sdwa v34, v7, s2 dst_sel:DWORD dst_unused:UNUSED_PAD src0_sel:BYTE_0 src1_sel:DWORD
	v_fma_f16 v29, v35, v38, -v29
	v_lshrrev_b16_e32 v35, 12, v34
	v_mul_lo_u16_e32 v34, 30, v35
	v_sub_u16_e32 v34, v7, v34
	v_lshlrev_b32_sdwa v46, v42, v34 dst_sel:DWORD dst_unused:UNUSED_PAD src0_sel:DWORD src1_sel:BYTE_0
	v_lshlrev_b32_sdwa v34, v45, v34 dst_sel:DWORD dst_unused:UNUSED_PAD src0_sel:DWORD src1_sel:BYTE_0
	global_load_dwordx2 v[37:38], v34, s[8:9] offset:108
	s_mov_b32 s2, 0x8889
	s_waitcnt vmcnt(0) lgkmcnt(0)
	v_mul_f16_sdwa v34, v36, v37 dst_sel:DWORD dst_unused:UNUSED_PAD src0_sel:DWORD src1_sel:WORD_1
	v_fma_f16 v34, v32, v37, -v34
	v_mul_f16_sdwa v32, v32, v37 dst_sel:DWORD dst_unused:UNUSED_PAD src0_sel:DWORD src1_sel:WORD_1
	v_fma_f16 v36, v36, v37, v32
	v_mul_f16_sdwa v32, v33, v38 dst_sel:DWORD dst_unused:UNUSED_PAD src0_sel:DWORD src1_sel:WORD_1
	v_fma_f16 v37, v31, v38, -v32
	v_mul_f16_sdwa v31, v31, v38 dst_sel:DWORD dst_unused:UNUSED_PAD src0_sel:DWORD src1_sel:WORD_1
	v_fma_f16 v38, v33, v38, v31
	v_mul_u32_u24_sdwa v31, v12, s2 dst_sel:DWORD dst_unused:UNUSED_PAD src0_sel:WORD_0 src1_sel:DWORD
	v_lshrrev_b32_e32 v31, 20, v31
	v_mul_lo_u16_e32 v31, 30, v31
	v_sub_u16_e32 v33, v12, v31
	v_lshlrev_b32_e32 v31, 3, v33
	global_load_dwordx2 v[31:32], v31, s[8:9] offset:108
	s_movk_i32 s2, 0x3aee
	s_waitcnt vmcnt(0)
	s_barrier
	v_lshl_add_u32 v43, v33, 1, 0
	v_mul_f16_sdwa v40, v14, v31 dst_sel:DWORD dst_unused:UNUSED_PAD src0_sel:DWORD src1_sel:WORD_1
	v_fma_f16 v40, v6, v31, -v40
	v_mul_f16_sdwa v6, v6, v31 dst_sel:DWORD dst_unused:UNUSED_PAD src0_sel:DWORD src1_sel:WORD_1
	v_fma_f16 v6, v14, v31, v6
	v_mul_f16_sdwa v14, v13, v32 dst_sel:DWORD dst_unused:UNUSED_PAD src0_sel:DWORD src1_sel:WORD_1
	v_fma_f16 v42, v5, v32, -v14
	v_mul_f16_sdwa v5, v5, v32 dst_sel:DWORD dst_unused:UNUSED_PAD src0_sel:DWORD src1_sel:WORD_1
	v_fma_f16 v5, v13, v32, v5
	v_add_f16_e32 v13, v27, v22
	v_add_f16_e32 v31, v13, v24
	v_add_f16_e32 v13, v22, v24
	v_fma_f16 v13, v13, -0.5, v27
	v_sub_f16_e32 v14, v23, v25
	v_fma_f16 v27, v14, s2, v13
	v_fma_f16 v32, v14, s3, v13
	v_add_f16_e32 v13, v21, v26
	v_add_f16_e32 v47, v13, v29
	v_add_f16_e32 v13, v26, v29
	v_fma_f16 v13, v13, -0.5, v21
	v_sub_f16_e32 v14, v28, v30
	v_fma_f16 v21, v14, s2, v13
	;; [unrolled: 7-line block ×3, first 2 shown]
	v_fma_f16 v50, v14, s3, v13
	v_add_f16_e32 v13, v15, v40
	v_add_f16_e32 v14, v13, v42
	;; [unrolled: 1-line block ×3, first 2 shown]
	v_fma_f16 v13, v13, -0.5, v15
	v_sub_f16_e32 v45, v6, v5
	ds_write_b16 v44, v31
	ds_write_b16 v44, v27 offset:60
	ds_write_b16 v44, v32 offset:120
	v_mul_u32_u24_e32 v27, 0xb4, v39
	v_fma_f16 v15, v45, s2, v13
	v_fma_f16 v13, v45, s3, v13
	v_add3_u32 v45, 0, v27, v41
	ds_write_b16 v45, v47
	ds_write_b16 v45, v21 offset:60
	ds_write_b16 v45, v48 offset:120
	v_mul_u32_u24_e32 v21, 0xb4, v35
	v_add3_u32 v46, 0, v21, v46
	ds_write_b16 v46, v49
	ds_write_b16 v46, v20 offset:60
	ds_write_b16 v46, v50 offset:120
	s_and_saveexec_b64 s[2:3], s[0:1]
	s_cbranch_execz .LBB0_25
; %bb.24:
	ds_write_b16 v43, v14 offset:1440
	ds_write_b16 v43, v15 offset:1500
	;; [unrolled: 1-line block ×3, first 2 shown]
.LBB0_25:
	s_or_b64 exec, exec, s[2:3]
	s_waitcnt lgkmcnt(0)
	s_barrier
	ds_read_u16 v27, v0
	ds_read_u16 v39, v0 offset:540
	ds_read_u16 v33, v0 offset:702
	;; [unrolled: 1-line block ×3, first 2 shown]
	ds_read_u16 v20, v11
	ds_read_u16 v21, v8
	ds_read_u16 v32, v0 offset:1404
	ds_read_u16 v41, v0 offset:1080
	;; [unrolled: 1-line block ×3, first 2 shown]
	s_and_saveexec_b64 s[2:3], s[0:1]
	s_cbranch_execz .LBB0_27
; %bb.26:
	ds_read_u16 v14, v0 offset:486
	ds_read_u16 v15, v0 offset:1026
	;; [unrolled: 1-line block ×3, first 2 shown]
.LBB0_27:
	s_or_b64 exec, exec, s[2:3]
	v_add_f16_e32 v47, v19, v23
	v_add_f16_e32 v23, v23, v25
	v_fma_f16 v19, v23, -0.5, v19
	v_sub_f16_e32 v22, v22, v24
	s_mov_b32 s2, 0xbaee
	s_movk_i32 s3, 0x3aee
	v_fma_f16 v23, v22, s2, v19
	v_fma_f16 v24, v22, s3, v19
	v_add_f16_e32 v19, v18, v28
	v_add_f16_e32 v47, v47, v25
	;; [unrolled: 1-line block ×4, first 2 shown]
	v_fma_f16 v18, v19, -0.5, v18
	v_sub_f16_e32 v19, v26, v29
	v_fma_f16 v26, v19, s2, v18
	v_fma_f16 v18, v19, s3, v18
	v_add_f16_e32 v19, v17, v36
	v_add_f16_e32 v28, v19, v38
	;; [unrolled: 1-line block ×3, first 2 shown]
	v_fma_f16 v17, v19, -0.5, v17
	v_sub_f16_e32 v19, v34, v37
	v_fma_f16 v29, v19, s2, v17
	v_fma_f16 v30, v19, s3, v17
	v_add_f16_e32 v17, v16, v6
	v_add_f16_e32 v17, v17, v5
	;; [unrolled: 1-line block ×3, first 2 shown]
	v_fma_f16 v5, v5, -0.5, v16
	v_sub_f16_e32 v6, v40, v42
	v_fma_f16 v22, v6, s2, v5
	v_fma_f16 v19, v6, s3, v5
	s_waitcnt lgkmcnt(0)
	s_barrier
	ds_write_b16 v44, v47
	ds_write_b16 v44, v23 offset:60
	ds_write_b16 v44, v24 offset:120
	ds_write_b16 v45, v25
	ds_write_b16 v45, v26 offset:60
	ds_write_b16 v45, v18 offset:120
	;; [unrolled: 3-line block ×3, first 2 shown]
	s_and_saveexec_b64 s[2:3], s[0:1]
	s_cbranch_execz .LBB0_29
; %bb.28:
	ds_write_b16 v43, v17 offset:1440
	ds_write_b16 v43, v22 offset:1500
	;; [unrolled: 1-line block ×3, first 2 shown]
.LBB0_29:
	s_or_b64 exec, exec, s[2:3]
	s_waitcnt lgkmcnt(0)
	s_barrier
	ds_read_u16 v25, v0
	ds_read_u16 v30, v0 offset:540
	ds_read_u16 v26, v0 offset:702
	;; [unrolled: 1-line block ×3, first 2 shown]
	ds_read_u16 v16, v11
	ds_read_u16 v18, v8
	ds_read_u16 v24, v0 offset:1404
	ds_read_u16 v36, v0 offset:1080
	;; [unrolled: 1-line block ×3, first 2 shown]
	s_and_saveexec_b64 s[2:3], s[0:1]
	s_cbranch_execz .LBB0_31
; %bb.30:
	ds_read_u16 v17, v0 offset:486
	ds_read_u16 v22, v0 offset:1026
	;; [unrolled: 1-line block ×3, first 2 shown]
.LBB0_31:
	s_or_b64 exec, exec, s[2:3]
	v_lshlrev_b32_e32 v45, 1, v9
	v_mov_b32_e32 v46, 0
	v_lshlrev_b64 v[5:6], 2, v[45:46]
	v_mov_b32_e32 v29, s9
	v_add_co_u32_e64 v5, s[2:3], s8, v5
	v_addc_co_u32_e64 v6, s[2:3], v29, v6, s[2:3]
	v_add_u32_e32 v34, -9, v9
	v_cmp_gt_u32_e64 s[2:3], 9, v9
	v_cndmask_b32_e64 v34, v34, v10, s[2:3]
	v_lshlrev_b32_e32 v45, 1, v34
	v_lshlrev_b64 v[37:38], 2, v[45:46]
	v_mov_b32_e32 v34, 3
	v_add_co_u32_e64 v37, s[2:3], s8, v37
	v_addc_co_u32_e64 v38, s[2:3], v29, v38, s[2:3]
	s_movk_i32 s2, 0xb7
	v_mul_lo_u16_sdwa v29, v7, s2 dst_sel:DWORD dst_unused:UNUSED_PAD src0_sel:BYTE_0 src1_sel:DWORD
	v_lshrrev_b16_e32 v50, 14, v29
	v_mul_lo_u16_e32 v29, 0x5a, v50
	s_movk_i32 s2, 0x2d83
	v_sub_u16_e32 v29, v7, v29
	v_mul_u32_u24_sdwa v40, v12, s2 dst_sel:DWORD dst_unused:UNUSED_PAD src0_sel:WORD_0 src1_sel:DWORD
	v_lshlrev_b32_sdwa v34, v34, v29 dst_sel:DWORD dst_unused:UNUSED_PAD src0_sel:DWORD src1_sel:BYTE_0
	v_lshrrev_b32_e32 v40, 20, v40
	global_load_dwordx2 v[42:43], v[5:6], off offset:348
	global_load_dwordx2 v[46:47], v34, s[8:9] offset:348
	v_mul_lo_u16_e32 v34, 0x5a, v40
	v_sub_u16_e32 v51, v12, v34
	v_lshlrev_b32_e32 v34, 3, v51
	global_load_dwordx2 v[37:38], v[37:38], off offset:348
	s_movk_i32 s2, 0x3aee
	global_load_dwordx2 v[48:49], v34, s[8:9] offset:348
	v_mov_b32_e32 v34, 1
	v_lshlrev_b32_sdwa v52, v34, v29 dst_sel:DWORD dst_unused:UNUSED_PAD src0_sel:DWORD src1_sel:BYTE_0
	s_mov_b32 s3, 0xbaee
	s_waitcnt vmcnt(0) lgkmcnt(0)
	s_barrier
	v_mul_f16_sdwa v29, v30, v42 dst_sel:DWORD dst_unused:UNUSED_PAD src0_sel:DWORD src1_sel:WORD_1
	v_mul_f16_sdwa v34, v39, v42 dst_sel:DWORD dst_unused:UNUSED_PAD src0_sel:DWORD src1_sel:WORD_1
	;; [unrolled: 1-line block ×4, first 2 shown]
	v_fma_f16 v29, v39, v42, -v29
	v_fma_f16 v34, v30, v42, v34
	v_fma_f16 v30, v41, v43, -v40
	v_fma_f16 v36, v36, v43, v44
	v_mul_f16_sdwa v39, v26, v37 dst_sel:DWORD dst_unused:UNUSED_PAD src0_sel:DWORD src1_sel:WORD_1
	v_mul_f16_sdwa v40, v33, v37 dst_sel:DWORD dst_unused:UNUSED_PAD src0_sel:DWORD src1_sel:WORD_1
	;; [unrolled: 1-line block ×6, first 2 shown]
	v_add_f16_e32 v62, v29, v30
	v_mul_f16_sdwa v42, v31, v38 dst_sel:DWORD dst_unused:UNUSED_PAD src0_sel:DWORD src1_sel:WORD_1
	v_mul_f16_sdwa v54, v35, v46 dst_sel:DWORD dst_unused:UNUSED_PAD src0_sel:DWORD src1_sel:WORD_1
	;; [unrolled: 1-line block ×6, first 2 shown]
	v_sub_f16_e32 v63, v34, v36
	v_fma_f16 v39, v33, v37, -v39
	v_fma_f16 v43, v26, v37, v40
	v_fma_f16 v41, v31, v38, -v41
	v_fma_f16 v33, v35, v46, -v53
	;; [unrolled: 1-line block ×4, first 2 shown]
	v_fma_f16 v13, v62, -0.5, v27
	v_add_f16_e32 v61, v27, v29
	v_fma_f16 v44, v23, v38, v42
	v_fma_f16 v40, v28, v46, v54
	;; [unrolled: 1-line block ×3, first 2 shown]
	v_fma_f16 v31, v15, v48, -v57
	v_fma_f16 v35, v22, v48, v58
	v_fma_f16 v22, v63, s2, v13
	;; [unrolled: 1-line block ×3, first 2 shown]
	v_add_f16_e32 v13, v21, v39
	v_add_f16_e32 v15, v39, v41
	v_add_f16_e32 v27, v33, v37
	v_add_f16_e32 v26, v20, v33
	v_sub_f16_e32 v28, v40, v42
	v_add_f16_e32 v47, v13, v41
	v_fma_f16 v13, v15, -0.5, v21
	v_fma_f16 v15, v27, -0.5, v20
	v_fma_f16 v38, v19, v49, v60
	v_sub_f16_e32 v24, v43, v44
	v_add_f16_e32 v21, v26, v37
	v_fma_f16 v26, v28, s2, v15
	v_fma_f16 v27, v28, s3, v15
	v_add_f16_e32 v15, v31, v32
	v_add_f16_e32 v19, v61, v30
	v_fma_f16 v20, v24, s2, v13
	v_fma_f16 v24, v24, s3, v13
	v_add_f16_e32 v13, v14, v31
	v_fma_f16 v14, v15, -0.5, v14
	v_sub_f16_e32 v28, v35, v38
	v_fma_f16 v15, v28, s2, v14
	v_fma_f16 v14, v28, s3, v14
	ds_write_b16 v0, v19
	ds_write_b16 v0, v22 offset:180
	ds_write_b16 v0, v23 offset:360
	v_mov_b32_e32 v19, 0x21c
	v_cmp_lt_u32_e64 s[2:3], 8, v9
	v_cndmask_b32_e64 v19, 0, v19, s[2:3]
	v_add3_u32 v46, 0, v19, v45
	v_mul_u32_u24_e32 v19, 0x21c, v50
	v_add_f16_e32 v13, v13, v32
	ds_write_b16 v46, v47
	ds_write_b16 v46, v20 offset:180
	ds_write_b16 v46, v24 offset:360
	v_add3_u32 v47, 0, v19, v52
	v_lshl_add_u32 v45, v51, 1, 0
	ds_write_b16 v47, v21
	ds_write_b16 v47, v26 offset:180
	ds_write_b16 v47, v27 offset:360
	s_and_saveexec_b64 s[2:3], s[0:1]
	s_cbranch_execz .LBB0_33
; %bb.32:
	ds_write_b16 v45, v13 offset:1080
	ds_write_b16 v45, v15 offset:1260
	;; [unrolled: 1-line block ×3, first 2 shown]
.LBB0_33:
	s_or_b64 exec, exec, s[2:3]
	s_waitcnt lgkmcnt(0)
	s_barrier
	ds_read_u16 v19, v0
	ds_read_u16 v22, v0 offset:540
	ds_read_u16 v23, v0 offset:702
	ds_read_u16 v24, v0 offset:1242
	ds_read_u16 v21, v11
	ds_read_u16 v20, v8
	ds_read_u16 v27, v0 offset:1404
	ds_read_u16 v26, v0 offset:1080
	;; [unrolled: 1-line block ×3, first 2 shown]
	s_and_saveexec_b64 s[2:3], s[0:1]
	s_cbranch_execz .LBB0_35
; %bb.34:
	ds_read_u16 v13, v0 offset:486
	ds_read_u16 v15, v0 offset:1026
	;; [unrolled: 1-line block ×3, first 2 shown]
.LBB0_35:
	s_or_b64 exec, exec, s[2:3]
	v_add_f16_e32 v48, v25, v34
	v_add_f16_e32 v34, v34, v36
	v_fma_f16 v25, v34, -0.5, v25
	v_sub_f16_e32 v29, v29, v30
	s_mov_b32 s2, 0xbaee
	s_movk_i32 s3, 0x3aee
	v_add_f16_e32 v34, v43, v44
	v_fma_f16 v30, v29, s2, v25
	v_fma_f16 v25, v29, s3, v25
	v_add_f16_e32 v29, v18, v43
	v_fma_f16 v18, v34, -0.5, v18
	v_sub_f16_e32 v34, v39, v41
	v_add_f16_e32 v48, v48, v36
	v_fma_f16 v36, v34, s2, v18
	v_fma_f16 v34, v34, s3, v18
	v_add_f16_e32 v18, v16, v40
	v_add_f16_e32 v39, v18, v42
	;; [unrolled: 1-line block ×3, first 2 shown]
	v_fma_f16 v16, v18, -0.5, v16
	v_sub_f16_e32 v18, v33, v37
	v_fma_f16 v33, v18, s2, v16
	v_fma_f16 v37, v18, s3, v16
	v_add_f16_e32 v18, v35, v38
	v_add_f16_e32 v16, v17, v35
	v_fma_f16 v17, v18, -0.5, v17
	v_sub_f16_e32 v31, v31, v32
	v_add_f16_e32 v16, v16, v38
	v_fma_f16 v18, v31, s2, v17
	v_fma_f16 v17, v31, s3, v17
	v_add_f16_e32 v29, v29, v44
	s_waitcnt lgkmcnt(0)
	s_barrier
	ds_write_b16 v0, v48
	ds_write_b16 v0, v30 offset:180
	ds_write_b16 v0, v25 offset:360
	ds_write_b16 v46, v29
	ds_write_b16 v46, v36 offset:180
	ds_write_b16 v46, v34 offset:360
	;; [unrolled: 3-line block ×3, first 2 shown]
	s_and_saveexec_b64 s[2:3], s[0:1]
	s_cbranch_execz .LBB0_37
; %bb.36:
	ds_write_b16 v45, v16 offset:1080
	ds_write_b16 v45, v18 offset:1260
	;; [unrolled: 1-line block ×3, first 2 shown]
.LBB0_37:
	s_or_b64 exec, exec, s[2:3]
	s_waitcnt lgkmcnt(0)
	s_barrier
	ds_read_u16 v25, v0
	ds_read_u16 v29, v0 offset:540
	ds_read_u16 v31, v0 offset:702
	;; [unrolled: 1-line block ×3, first 2 shown]
	ds_read_u16 v30, v11
	ds_read_u16 v11, v8
	ds_read_u16 v34, v0 offset:1404
	ds_read_u16 v33, v0 offset:1080
	;; [unrolled: 1-line block ×3, first 2 shown]
	s_and_saveexec_b64 s[2:3], s[0:1]
	s_cbranch_execz .LBB0_39
; %bb.38:
	ds_read_u16 v16, v0 offset:486
	ds_read_u16 v18, v0 offset:1026
	;; [unrolled: 1-line block ×3, first 2 shown]
.LBB0_39:
	s_or_b64 exec, exec, s[2:3]
	s_and_saveexec_b64 s[2:3], vcc
	s_cbranch_execz .LBB0_42
; %bb.40:
	v_lshlrev_b32_e32 v7, 1, v7
	v_mov_b32_e32 v8, 0
	v_lshlrev_b64 v[36:37], 2, v[7:8]
	v_lshlrev_b32_e32 v7, 1, v10
	v_mov_b32_e32 v0, s9
	v_add_co_u32_e32 v36, vcc, s8, v36
	v_lshlrev_b64 v[38:39], 2, v[7:8]
	v_addc_co_u32_e32 v37, vcc, v0, v37, vcc
	global_load_dwordx2 v[36:37], v[36:37], off offset:1068
	v_add_co_u32_e32 v38, vcc, s8, v38
	v_addc_co_u32_e32 v39, vcc, v0, v39, vcc
	global_load_dwordx2 v[40:41], v[38:39], off offset:1068
	global_load_dwordx2 v[42:43], v[5:6], off offset:1068
	s_mov_b32 s6, 0xf2b9d649
	v_mul_lo_u32 v0, s5, v3
	v_mul_lo_u32 v5, s4, v4
	v_mad_u64_u32 v[3:4], s[2:3], s4, v3, 0
	v_mul_hi_u32 v6, v9, s6
	s_movk_i32 s2, 0x3aee
	v_add3_u32 v4, v4, v5, v0
	s_mov_b32 s3, 0xbaee
	v_lshrrev_b32_e32 v0, 8, v6
	v_mul_u32_u24_e32 v0, 0x10e, v0
	v_sub_u32_e32 v10, v9, v0
	v_lshlrev_b64 v[3:4], 2, v[3:4]
	s_movk_i32 s10, 0x32a
	s_movk_i32 s7, 0x10e
	s_waitcnt vmcnt(2) lgkmcnt(0)
	v_mul_f16_sdwa v0, v35, v36 dst_sel:DWORD dst_unused:UNUSED_PAD src0_sel:DWORD src1_sel:WORD_1
	v_mul_f16_sdwa v5, v34, v37 dst_sel:DWORD dst_unused:UNUSED_PAD src0_sel:DWORD src1_sel:WORD_1
	;; [unrolled: 1-line block ×4, first 2 shown]
	v_fma_f16 v0, v28, v36, -v0
	v_fma_f16 v5, v27, v37, -v5
	v_fma_f16 v6, v35, v36, v6
	v_fma_f16 v7, v34, v37, v7
	s_waitcnt vmcnt(1)
	v_mul_f16_sdwa v27, v31, v40 dst_sel:DWORD dst_unused:UNUSED_PAD src0_sel:DWORD src1_sel:WORD_1
	v_mul_f16_sdwa v28, v32, v41 dst_sel:DWORD dst_unused:UNUSED_PAD src0_sel:DWORD src1_sel:WORD_1
	;; [unrolled: 1-line block ×4, first 2 shown]
	s_waitcnt vmcnt(0)
	v_mul_f16_sdwa v38, v22, v42 dst_sel:DWORD dst_unused:UNUSED_PAD src0_sel:DWORD src1_sel:WORD_1
	v_mul_f16_sdwa v39, v26, v43 dst_sel:DWORD dst_unused:UNUSED_PAD src0_sel:DWORD src1_sel:WORD_1
	v_sub_f16_e32 v44, v0, v5
	v_add_f16_e32 v46, v30, v6
	v_add_f16_e32 v47, v0, v5
	;; [unrolled: 1-line block ×3, first 2 shown]
	v_fma_f16 v23, v23, v40, -v27
	v_fma_f16 v24, v24, v41, -v28
	v_fma_f16 v27, v31, v40, v34
	v_fma_f16 v28, v32, v41, v35
	v_mul_f16_sdwa v36, v29, v42 dst_sel:DWORD dst_unused:UNUSED_PAD src0_sel:DWORD src1_sel:WORD_1
	v_add_f16_e32 v45, v6, v7
	v_sub_f16_e32 v6, v6, v7
	v_fma_f16 v29, v29, v42, v38
	v_fma_f16 v31, v33, v43, v39
	v_add_f16_e32 v32, v46, v7
	v_fma_f16 v7, v47, -0.5, v21
	v_add_f16_e32 v21, v0, v5
	v_add_f16_e32 v5, v27, v28
	;; [unrolled: 1-line block ×3, first 2 shown]
	v_mul_f16_sdwa v37, v33, v43 dst_sel:DWORD dst_unused:UNUSED_PAD src0_sel:DWORD src1_sel:WORD_1
	v_fma_f16 v22, v22, v42, -v36
	v_sub_f16_e32 v0, v23, v24
	v_add_f16_e32 v33, v11, v27
	v_sub_f16_e32 v27, v27, v28
	v_add_f16_e32 v36, v29, v31
	v_fma_f16 v40, v6, s3, v7
	v_fma_f16 v41, v6, s2, v7
	v_fma_f16 v5, v5, -0.5, v11
	v_fma_f16 v6, v34, -0.5, v20
	v_fma_f16 v26, v26, v43, -v37
	v_add_f16_e32 v37, v25, v29
	v_add_f16_e32 v11, v33, v28
	v_fma_f16 v7, v36, -0.5, v25
	v_fma_f16 v25, v0, s2, v5
	v_fma_f16 v28, v0, s3, v5
	;; [unrolled: 1-line block ×4, first 2 shown]
	v_mad_u64_u32 v[5:6], s[4:5], s20, v10, 0
	v_add_f16_e32 v23, v20, v23
	v_add_f16_e32 v38, v22, v26
	;; [unrolled: 1-line block ×3, first 2 shown]
	v_fma_f16 v24, v38, -0.5, v19
	v_sub_f16_e32 v0, v29, v31
	v_sub_f16_e32 v35, v22, v26
	v_fma_f16 v29, v0, s3, v24
	v_fma_f16 v24, v0, s2, v24
	v_mov_b32_e32 v0, v6
	v_fma_f16 v34, v35, s2, v7
	v_fma_f16 v35, v35, s3, v7
	v_mad_u64_u32 v[6:7], s[4:5], s21, v10, v[0:1]
	v_add_f16_e32 v0, v19, v22
	v_add_f16_e32 v19, v0, v26
	v_mov_b32_e32 v0, s15
	v_add_co_u32_e32 v7, vcc, s14, v3
	v_addc_co_u32_e32 v4, vcc, v0, v4, vcc
	v_lshlrev_b64 v[0:1], 2, v[1:2]
	v_add_u32_e32 v22, 0x10e, v10
	v_mad_u64_u32 v[2:3], s[4:5], s20, v22, 0
	v_add_co_u32_e32 v0, vcc, v7, v0
	v_addc_co_u32_e32 v1, vcc, v4, v1, vcc
	v_lshlrev_b64 v[4:5], 2, v[5:6]
	v_add_f16_e32 v23, v37, v31
	v_mad_u64_u32 v[6:7], s[4:5], s21, v22, v[3:4]
	v_add_co_u32_e32 v3, vcc, v0, v4
	v_addc_co_u32_e32 v4, vcc, v1, v5, vcc
	v_pack_b32_f16 v5, v19, v23
	global_store_dword v[3:4], v5, off
	v_mov_b32_e32 v3, v6
	v_add_u32_e32 v6, 0x21c, v10
	v_mad_u64_u32 v[4:5], s[4:5], s20, v6, 0
	v_lshlrev_b64 v[2:3], 2, v[2:3]
	v_pack_b32_f16 v7, v24, v35
	v_mad_u64_u32 v[5:6], s[4:5], s21, v6, v[5:6]
	v_add_u32_e32 v6, 0x51, v9
	v_mul_hi_u32 v10, v6, s6
	v_add_co_u32_e32 v2, vcc, v0, v2
	v_addc_co_u32_e32 v3, vcc, v1, v3, vcc
	global_store_dword v[2:3], v7, off
	v_lshlrev_b64 v[2:3], 2, v[4:5]
	v_lshrrev_b32_e32 v4, 8, v10
	v_mul_u32_u24_e32 v5, 0x10e, v4
	v_sub_u32_e32 v5, v6, v5
	v_mad_u32_u24 v10, v4, s10, v5
	v_mad_u64_u32 v[4:5], s[4:5], s20, v10, 0
	v_add_u32_e32 v22, 0x10e, v10
	v_add_co_u32_e32 v2, vcc, v0, v2
	v_mad_u64_u32 v[5:6], s[4:5], s21, v10, v[5:6]
	v_mad_u64_u32 v[6:7], s[4:5], s20, v22, 0
	v_addc_co_u32_e32 v3, vcc, v1, v3, vcc
	v_pack_b32_f16 v19, v29, v34
	global_store_dword v[2:3], v19, off
	v_lshlrev_b64 v[2:3], 2, v[4:5]
	v_mov_b32_e32 v4, v7
	v_mad_u64_u32 v[4:5], s[4:5], s21, v22, v[4:5]
	v_add_co_u32_e32 v2, vcc, v0, v2
	v_addc_co_u32_e32 v3, vcc, v1, v3, vcc
	v_pack_b32_f16 v5, v20, v11
	v_mov_b32_e32 v7, v4
	global_store_dword v[2:3], v5, off
	v_lshlrev_b64 v[2:3], 2, v[6:7]
	v_add_u32_e32 v6, 0x21c, v10
	v_mad_u64_u32 v[4:5], s[4:5], s20, v6, 0
	v_add_u32_e32 v7, 0xa2, v9
	v_mul_hi_u32 v11, v7, s6
	v_mad_u64_u32 v[5:6], s[4:5], s21, v6, v[5:6]
	v_add_co_u32_e32 v2, vcc, v0, v2
	v_lshrrev_b32_e32 v6, 8, v11
	v_mul_u32_u24_e32 v11, 0x10e, v6
	v_sub_u32_e32 v7, v7, v11
	v_mad_u32_u24 v11, v6, s10, v7
	v_mad_u64_u32 v[6:7], s[4:5], s20, v11, 0
	v_addc_co_u32_e32 v3, vcc, v1, v3, vcc
	v_pack_b32_f16 v10, v27, v28
	global_store_dword v[2:3], v10, off
	v_lshlrev_b64 v[2:3], 2, v[4:5]
	v_mov_b32_e32 v4, v7
	v_mad_u64_u32 v[4:5], s[4:5], s21, v11, v[4:5]
	v_add_co_u32_e32 v2, vcc, v0, v2
	v_addc_co_u32_e32 v3, vcc, v1, v3, vcc
	v_pack_b32_f16 v5, v33, v25
	v_mov_b32_e32 v7, v4
	global_store_dword v[2:3], v5, off
	v_lshlrev_b64 v[2:3], 2, v[6:7]
	v_add_u32_e32 v6, 0x10e, v11
	v_mad_u64_u32 v[4:5], s[4:5], s20, v6, 0
	v_add_u32_e32 v11, 0x21c, v11
	v_add_co_u32_e32 v2, vcc, v0, v2
	v_mad_u64_u32 v[5:6], s[4:5], s21, v6, v[5:6]
	v_mad_u64_u32 v[6:7], s[4:5], s20, v11, 0
	v_addc_co_u32_e32 v3, vcc, v1, v3, vcc
	v_pack_b32_f16 v10, v21, v32
	global_store_dword v[2:3], v10, off
	v_lshlrev_b64 v[2:3], 2, v[4:5]
	v_mov_b32_e32 v4, v7
	v_mad_u64_u32 v[4:5], s[4:5], s21, v11, v[4:5]
	v_fma_f16 v30, v45, -0.5, v30
	v_fma_f16 v39, v44, s2, v30
	v_fma_f16 v30, v44, s3, v30
	v_add_co_u32_e32 v2, vcc, v0, v2
	v_addc_co_u32_e32 v3, vcc, v1, v3, vcc
	v_pack_b32_f16 v5, v41, v30
	v_mov_b32_e32 v7, v4
	global_store_dword v[2:3], v5, off
	v_lshlrev_b64 v[2:3], 2, v[6:7]
	v_pack_b32_f16 v4, v40, v39
	v_add_co_u32_e32 v2, vcc, v0, v2
	v_addc_co_u32_e32 v3, vcc, v1, v3, vcc
	global_store_dword v[2:3], v4, off
	v_add_u32_e32 v2, 0xf3, v9
	v_cmp_gt_u32_e32 vcc, s7, v2
	s_and_b64 exec, exec, vcc
	s_cbranch_execz .LBB0_42
; %bb.41:
	v_subrev_u32_e32 v3, 27, v9
	v_cndmask_b32_e64 v3, v3, v12, s[0:1]
	v_lshlrev_b32_e32 v7, 1, v3
	v_lshlrev_b64 v[3:4], 2, v[7:8]
	v_mov_b32_e32 v5, s9
	v_add_co_u32_e32 v3, vcc, s8, v3
	v_addc_co_u32_e32 v4, vcc, v5, v4, vcc
	global_load_dwordx2 v[3:4], v[3:4], off offset:1068
	v_add_u32_e32 v19, 0x201, v9
	v_mad_u64_u32 v[5:6], s[0:1], s20, v2, 0
	v_mad_u64_u32 v[7:8], s[0:1], s20, v19, 0
	v_add_u32_e32 v21, 0x30f, v9
	v_mad_u64_u32 v[9:10], s[0:1], s20, v21, 0
	v_mad_u64_u32 v[11:12], s[0:1], s21, v2, v[6:7]
	v_mov_b32_e32 v2, v8
	v_mov_b32_e32 v6, v10
	s_waitcnt vmcnt(0)
	v_mad_u64_u32 v[19:20], s[0:1], s21, v19, v[2:3]
	v_mad_u64_u32 v[20:21], s[0:1], s21, v21, v[6:7]
	v_mov_b32_e32 v6, v11
	v_lshlrev_b64 v[5:6], 2, v[5:6]
	v_mov_b32_e32 v8, v19
	v_lshlrev_b64 v[7:8], 2, v[7:8]
	v_add_co_u32_e32 v5, vcc, v0, v5
	v_mov_b32_e32 v10, v20
	v_addc_co_u32_e32 v6, vcc, v1, v6, vcc
	v_lshlrev_b64 v[9:10], 2, v[9:10]
	v_add_co_u32_e32 v7, vcc, v0, v7
	v_addc_co_u32_e32 v8, vcc, v1, v8, vcc
	v_add_co_u32_e32 v0, vcc, v0, v9
	v_addc_co_u32_e32 v1, vcc, v1, v10, vcc
	v_mul_f16_sdwa v2, v18, v3 dst_sel:DWORD dst_unused:UNUSED_PAD src0_sel:DWORD src1_sel:WORD_1
	v_mul_f16_sdwa v9, v15, v3 dst_sel:DWORD dst_unused:UNUSED_PAD src0_sel:DWORD src1_sel:WORD_1
	;; [unrolled: 1-line block ×4, first 2 shown]
	v_fma_f16 v2, v15, v3, -v2
	v_fma_f16 v3, v18, v3, v9
	v_fma_f16 v9, v14, v4, -v10
	v_fma_f16 v4, v17, v4, v11
	v_add_f16_e32 v10, v13, v2
	v_add_f16_e32 v11, v2, v9
	v_sub_f16_e32 v12, v3, v4
	v_add_f16_e32 v14, v16, v3
	v_add_f16_e32 v3, v3, v4
	v_sub_f16_e32 v2, v2, v9
	v_add_f16_e32 v9, v10, v9
	v_fma_f16 v10, v11, -0.5, v13
	v_add_f16_e32 v4, v14, v4
	v_fma_f16 v3, v3, -0.5, v16
	v_fma_f16 v11, v12, s2, v10
	v_fma_f16 v10, v12, s3, v10
	;; [unrolled: 1-line block ×4, first 2 shown]
	v_pack_b32_f16 v3, v9, v4
	global_store_dword v[5:6], v3, off
	v_pack_b32_f16 v3, v11, v12
	v_pack_b32_f16 v2, v10, v2
	global_store_dword v[7:8], v3, off
	global_store_dword v[0:1], v2, off
.LBB0_42:
	s_endpgm
	.section	.rodata,"a",@progbits
	.p2align	6, 0x0
	.amdhsa_kernel fft_rtc_fwd_len810_factors_3_10_3_3_3_wgs_81_tpt_81_halfLds_half_op_CI_CI_sbrr_dirReg
		.amdhsa_group_segment_fixed_size 0
		.amdhsa_private_segment_fixed_size 0
		.amdhsa_kernarg_size 104
		.amdhsa_user_sgpr_count 6
		.amdhsa_user_sgpr_private_segment_buffer 1
		.amdhsa_user_sgpr_dispatch_ptr 0
		.amdhsa_user_sgpr_queue_ptr 0
		.amdhsa_user_sgpr_kernarg_segment_ptr 1
		.amdhsa_user_sgpr_dispatch_id 0
		.amdhsa_user_sgpr_flat_scratch_init 0
		.amdhsa_user_sgpr_private_segment_size 0
		.amdhsa_uses_dynamic_stack 0
		.amdhsa_system_sgpr_private_segment_wavefront_offset 0
		.amdhsa_system_sgpr_workgroup_id_x 1
		.amdhsa_system_sgpr_workgroup_id_y 0
		.amdhsa_system_sgpr_workgroup_id_z 0
		.amdhsa_system_sgpr_workgroup_info 0
		.amdhsa_system_vgpr_workitem_id 0
		.amdhsa_next_free_vgpr 64
		.amdhsa_next_free_sgpr 32
		.amdhsa_reserve_vcc 1
		.amdhsa_reserve_flat_scratch 0
		.amdhsa_float_round_mode_32 0
		.amdhsa_float_round_mode_16_64 0
		.amdhsa_float_denorm_mode_32 3
		.amdhsa_float_denorm_mode_16_64 3
		.amdhsa_dx10_clamp 1
		.amdhsa_ieee_mode 1
		.amdhsa_fp16_overflow 0
		.amdhsa_exception_fp_ieee_invalid_op 0
		.amdhsa_exception_fp_denorm_src 0
		.amdhsa_exception_fp_ieee_div_zero 0
		.amdhsa_exception_fp_ieee_overflow 0
		.amdhsa_exception_fp_ieee_underflow 0
		.amdhsa_exception_fp_ieee_inexact 0
		.amdhsa_exception_int_div_zero 0
	.end_amdhsa_kernel
	.text
.Lfunc_end0:
	.size	fft_rtc_fwd_len810_factors_3_10_3_3_3_wgs_81_tpt_81_halfLds_half_op_CI_CI_sbrr_dirReg, .Lfunc_end0-fft_rtc_fwd_len810_factors_3_10_3_3_3_wgs_81_tpt_81_halfLds_half_op_CI_CI_sbrr_dirReg
                                        ; -- End function
	.section	.AMDGPU.csdata,"",@progbits
; Kernel info:
; codeLenInByte = 8984
; NumSgprs: 36
; NumVgprs: 64
; ScratchSize: 0
; MemoryBound: 0
; FloatMode: 240
; IeeeMode: 1
; LDSByteSize: 0 bytes/workgroup (compile time only)
; SGPRBlocks: 4
; VGPRBlocks: 15
; NumSGPRsForWavesPerEU: 36
; NumVGPRsForWavesPerEU: 64
; Occupancy: 4
; WaveLimiterHint : 1
; COMPUTE_PGM_RSRC2:SCRATCH_EN: 0
; COMPUTE_PGM_RSRC2:USER_SGPR: 6
; COMPUTE_PGM_RSRC2:TRAP_HANDLER: 0
; COMPUTE_PGM_RSRC2:TGID_X_EN: 1
; COMPUTE_PGM_RSRC2:TGID_Y_EN: 0
; COMPUTE_PGM_RSRC2:TGID_Z_EN: 0
; COMPUTE_PGM_RSRC2:TIDIG_COMP_CNT: 0
	.type	__hip_cuid_83417d336db33eac,@object ; @__hip_cuid_83417d336db33eac
	.section	.bss,"aw",@nobits
	.globl	__hip_cuid_83417d336db33eac
__hip_cuid_83417d336db33eac:
	.byte	0                               ; 0x0
	.size	__hip_cuid_83417d336db33eac, 1

	.ident	"AMD clang version 19.0.0git (https://github.com/RadeonOpenCompute/llvm-project roc-6.4.0 25133 c7fe45cf4b819c5991fe208aaa96edf142730f1d)"
	.section	".note.GNU-stack","",@progbits
	.addrsig
	.addrsig_sym __hip_cuid_83417d336db33eac
	.amdgpu_metadata
---
amdhsa.kernels:
  - .args:
      - .actual_access:  read_only
        .address_space:  global
        .offset:         0
        .size:           8
        .value_kind:     global_buffer
      - .offset:         8
        .size:           8
        .value_kind:     by_value
      - .actual_access:  read_only
        .address_space:  global
        .offset:         16
        .size:           8
        .value_kind:     global_buffer
      - .actual_access:  read_only
        .address_space:  global
        .offset:         24
        .size:           8
        .value_kind:     global_buffer
      - .actual_access:  read_only
        .address_space:  global
        .offset:         32
        .size:           8
        .value_kind:     global_buffer
      - .offset:         40
        .size:           8
        .value_kind:     by_value
      - .actual_access:  read_only
        .address_space:  global
        .offset:         48
        .size:           8
        .value_kind:     global_buffer
      - .actual_access:  read_only
        .address_space:  global
        .offset:         56
        .size:           8
        .value_kind:     global_buffer
      - .offset:         64
        .size:           4
        .value_kind:     by_value
      - .actual_access:  read_only
        .address_space:  global
        .offset:         72
        .size:           8
        .value_kind:     global_buffer
      - .actual_access:  read_only
        .address_space:  global
        .offset:         80
        .size:           8
        .value_kind:     global_buffer
      - .actual_access:  read_only
        .address_space:  global
        .offset:         88
        .size:           8
        .value_kind:     global_buffer
      - .actual_access:  write_only
        .address_space:  global
        .offset:         96
        .size:           8
        .value_kind:     global_buffer
    .group_segment_fixed_size: 0
    .kernarg_segment_align: 8
    .kernarg_segment_size: 104
    .language:       OpenCL C
    .language_version:
      - 2
      - 0
    .max_flat_workgroup_size: 81
    .name:           fft_rtc_fwd_len810_factors_3_10_3_3_3_wgs_81_tpt_81_halfLds_half_op_CI_CI_sbrr_dirReg
    .private_segment_fixed_size: 0
    .sgpr_count:     36
    .sgpr_spill_count: 0
    .symbol:         fft_rtc_fwd_len810_factors_3_10_3_3_3_wgs_81_tpt_81_halfLds_half_op_CI_CI_sbrr_dirReg.kd
    .uniform_work_group_size: 1
    .uses_dynamic_stack: false
    .vgpr_count:     64
    .vgpr_spill_count: 0
    .wavefront_size: 64
amdhsa.target:   amdgcn-amd-amdhsa--gfx906
amdhsa.version:
  - 1
  - 2
...

	.end_amdgpu_metadata
